;; amdgpu-corpus repo=ROCm/rocFFT kind=compiled arch=gfx906 opt=O3
	.text
	.amdgcn_target "amdgcn-amd-amdhsa--gfx906"
	.amdhsa_code_object_version 6
	.protected	fft_rtc_back_len585_factors_13_5_9_wgs_195_tpt_65_dp_ip_CI_unitstride_sbrr_dirReg ; -- Begin function fft_rtc_back_len585_factors_13_5_9_wgs_195_tpt_65_dp_ip_CI_unitstride_sbrr_dirReg
	.globl	fft_rtc_back_len585_factors_13_5_9_wgs_195_tpt_65_dp_ip_CI_unitstride_sbrr_dirReg
	.p2align	8
	.type	fft_rtc_back_len585_factors_13_5_9_wgs_195_tpt_65_dp_ip_CI_unitstride_sbrr_dirReg,@function
fft_rtc_back_len585_factors_13_5_9_wgs_195_tpt_65_dp_ip_CI_unitstride_sbrr_dirReg: ; @fft_rtc_back_len585_factors_13_5_9_wgs_195_tpt_65_dp_ip_CI_unitstride_sbrr_dirReg
; %bb.0:
	v_mul_u32_u24_e32 v1, 0x3f1, v0
	s_load_dwordx2 s[2:3], s[4:5], 0x50
	s_load_dwordx4 s[8:11], s[4:5], 0x0
	s_load_dwordx2 s[12:13], s[4:5], 0x18
	v_lshrrev_b32_e32 v1, 16, v1
	v_mad_u64_u32 v[77:78], s[0:1], s6, 3, v[1:2]
	v_mov_b32_e32 v3, 0
	s_waitcnt lgkmcnt(0)
	v_cmp_lt_u64_e64 s[0:1], s[10:11], 2
	v_mov_b32_e32 v78, v3
	v_mov_b32_e32 v1, 0
	;; [unrolled: 1-line block ×3, first 2 shown]
	s_and_b64 vcc, exec, s[0:1]
	v_mov_b32_e32 v2, 0
	v_mov_b32_e32 v8, v78
	s_cbranch_vccnz .LBB0_8
; %bb.1:
	s_load_dwordx2 s[0:1], s[4:5], 0x10
	s_add_u32 s6, s12, 8
	s_addc_u32 s7, s13, 0
	v_mov_b32_e32 v1, 0
	v_mov_b32_e32 v5, v77
	s_waitcnt lgkmcnt(0)
	s_add_u32 s16, s0, 8
	s_mov_b64 s[14:15], 1
	v_mov_b32_e32 v2, 0
	s_addc_u32 s17, s1, 0
	v_mov_b32_e32 v6, v78
.LBB0_2:                                ; =>This Inner Loop Header: Depth=1
	s_load_dwordx2 s[18:19], s[16:17], 0x0
                                        ; implicit-def: $vgpr7_vgpr8
	s_waitcnt lgkmcnt(0)
	v_or_b32_e32 v4, s19, v6
	v_cmp_ne_u64_e32 vcc, 0, v[3:4]
	s_and_saveexec_b64 s[0:1], vcc
	s_xor_b64 s[20:21], exec, s[0:1]
	s_cbranch_execz .LBB0_4
; %bb.3:                                ;   in Loop: Header=BB0_2 Depth=1
	v_cvt_f32_u32_e32 v4, s18
	v_cvt_f32_u32_e32 v7, s19
	s_sub_u32 s0, 0, s18
	s_subb_u32 s1, 0, s19
	v_mac_f32_e32 v4, 0x4f800000, v7
	v_rcp_f32_e32 v4, v4
	v_mul_f32_e32 v4, 0x5f7ffffc, v4
	v_mul_f32_e32 v7, 0x2f800000, v4
	v_trunc_f32_e32 v7, v7
	v_mac_f32_e32 v4, 0xcf800000, v7
	v_cvt_u32_f32_e32 v7, v7
	v_cvt_u32_f32_e32 v4, v4
	v_mul_lo_u32 v8, s0, v7
	v_mul_hi_u32 v9, s0, v4
	v_mul_lo_u32 v11, s1, v4
	v_mul_lo_u32 v10, s0, v4
	v_add_u32_e32 v8, v9, v8
	v_add_u32_e32 v8, v8, v11
	v_mul_hi_u32 v9, v4, v10
	v_mul_lo_u32 v11, v4, v8
	v_mul_hi_u32 v13, v4, v8
	v_mul_hi_u32 v12, v7, v10
	v_mul_lo_u32 v10, v7, v10
	v_mul_hi_u32 v14, v7, v8
	v_add_co_u32_e32 v9, vcc, v9, v11
	v_addc_co_u32_e32 v11, vcc, 0, v13, vcc
	v_mul_lo_u32 v8, v7, v8
	v_add_co_u32_e32 v9, vcc, v9, v10
	v_addc_co_u32_e32 v9, vcc, v11, v12, vcc
	v_addc_co_u32_e32 v10, vcc, 0, v14, vcc
	v_add_co_u32_e32 v8, vcc, v9, v8
	v_addc_co_u32_e32 v9, vcc, 0, v10, vcc
	v_add_co_u32_e32 v4, vcc, v4, v8
	v_addc_co_u32_e32 v7, vcc, v7, v9, vcc
	v_mul_lo_u32 v8, s0, v7
	v_mul_hi_u32 v9, s0, v4
	v_mul_lo_u32 v10, s1, v4
	v_mul_lo_u32 v11, s0, v4
	v_add_u32_e32 v8, v9, v8
	v_add_u32_e32 v8, v8, v10
	v_mul_lo_u32 v12, v4, v8
	v_mul_hi_u32 v13, v4, v11
	v_mul_hi_u32 v14, v4, v8
	;; [unrolled: 1-line block ×3, first 2 shown]
	v_mul_lo_u32 v11, v7, v11
	v_mul_hi_u32 v9, v7, v8
	v_add_co_u32_e32 v12, vcc, v13, v12
	v_addc_co_u32_e32 v13, vcc, 0, v14, vcc
	v_mul_lo_u32 v8, v7, v8
	v_add_co_u32_e32 v11, vcc, v12, v11
	v_addc_co_u32_e32 v10, vcc, v13, v10, vcc
	v_addc_co_u32_e32 v9, vcc, 0, v9, vcc
	v_add_co_u32_e32 v8, vcc, v10, v8
	v_addc_co_u32_e32 v9, vcc, 0, v9, vcc
	v_add_co_u32_e32 v4, vcc, v4, v8
	v_addc_co_u32_e32 v9, vcc, v7, v9, vcc
	v_mad_u64_u32 v[7:8], s[0:1], v5, v9, 0
	v_mul_hi_u32 v10, v5, v4
	v_add_co_u32_e32 v11, vcc, v10, v7
	v_addc_co_u32_e32 v12, vcc, 0, v8, vcc
	v_mad_u64_u32 v[7:8], s[0:1], v6, v4, 0
	v_mad_u64_u32 v[9:10], s[0:1], v6, v9, 0
	v_add_co_u32_e32 v4, vcc, v11, v7
	v_addc_co_u32_e32 v4, vcc, v12, v8, vcc
	v_addc_co_u32_e32 v7, vcc, 0, v10, vcc
	v_add_co_u32_e32 v4, vcc, v4, v9
	v_addc_co_u32_e32 v9, vcc, 0, v7, vcc
	v_mul_lo_u32 v10, s19, v4
	v_mul_lo_u32 v11, s18, v9
	v_mad_u64_u32 v[7:8], s[0:1], s18, v4, 0
	v_add3_u32 v8, v8, v11, v10
	v_sub_u32_e32 v10, v6, v8
	v_mov_b32_e32 v11, s19
	v_sub_co_u32_e32 v7, vcc, v5, v7
	v_subb_co_u32_e64 v10, s[0:1], v10, v11, vcc
	v_subrev_co_u32_e64 v11, s[0:1], s18, v7
	v_subbrev_co_u32_e64 v10, s[0:1], 0, v10, s[0:1]
	v_cmp_le_u32_e64 s[0:1], s19, v10
	v_cndmask_b32_e64 v12, 0, -1, s[0:1]
	v_cmp_le_u32_e64 s[0:1], s18, v11
	v_cndmask_b32_e64 v11, 0, -1, s[0:1]
	v_cmp_eq_u32_e64 s[0:1], s19, v10
	v_cndmask_b32_e64 v10, v12, v11, s[0:1]
	v_add_co_u32_e64 v11, s[0:1], 2, v4
	v_addc_co_u32_e64 v12, s[0:1], 0, v9, s[0:1]
	v_add_co_u32_e64 v13, s[0:1], 1, v4
	v_addc_co_u32_e64 v14, s[0:1], 0, v9, s[0:1]
	v_subb_co_u32_e32 v8, vcc, v6, v8, vcc
	v_cmp_ne_u32_e64 s[0:1], 0, v10
	v_cmp_le_u32_e32 vcc, s19, v8
	v_cndmask_b32_e64 v10, v14, v12, s[0:1]
	v_cndmask_b32_e64 v12, 0, -1, vcc
	v_cmp_le_u32_e32 vcc, s18, v7
	v_cndmask_b32_e64 v7, 0, -1, vcc
	v_cmp_eq_u32_e32 vcc, s19, v8
	v_cndmask_b32_e32 v7, v12, v7, vcc
	v_cmp_ne_u32_e32 vcc, 0, v7
	v_cndmask_b32_e64 v7, v13, v11, s[0:1]
	v_cndmask_b32_e32 v8, v9, v10, vcc
	v_cndmask_b32_e32 v7, v4, v7, vcc
.LBB0_4:                                ;   in Loop: Header=BB0_2 Depth=1
	s_andn2_saveexec_b64 s[0:1], s[20:21]
	s_cbranch_execz .LBB0_6
; %bb.5:                                ;   in Loop: Header=BB0_2 Depth=1
	v_cvt_f32_u32_e32 v4, s18
	s_sub_i32 s20, 0, s18
	v_rcp_iflag_f32_e32 v4, v4
	v_mul_f32_e32 v4, 0x4f7ffffe, v4
	v_cvt_u32_f32_e32 v4, v4
	v_mul_lo_u32 v7, s20, v4
	v_mul_hi_u32 v7, v4, v7
	v_add_u32_e32 v4, v4, v7
	v_mul_hi_u32 v4, v5, v4
	v_mul_lo_u32 v7, v4, s18
	v_add_u32_e32 v8, 1, v4
	v_sub_u32_e32 v7, v5, v7
	v_subrev_u32_e32 v9, s18, v7
	v_cmp_le_u32_e32 vcc, s18, v7
	v_cndmask_b32_e32 v7, v7, v9, vcc
	v_cndmask_b32_e32 v4, v4, v8, vcc
	v_add_u32_e32 v8, 1, v4
	v_cmp_le_u32_e32 vcc, s18, v7
	v_cndmask_b32_e32 v7, v4, v8, vcc
	v_mov_b32_e32 v8, v3
.LBB0_6:                                ;   in Loop: Header=BB0_2 Depth=1
	s_or_b64 exec, exec, s[0:1]
	v_mul_lo_u32 v4, v8, s18
	v_mul_lo_u32 v11, v7, s19
	v_mad_u64_u32 v[9:10], s[0:1], v7, s18, 0
	s_load_dwordx2 s[0:1], s[6:7], 0x0
	s_add_u32 s14, s14, 1
	v_add3_u32 v4, v10, v11, v4
	v_sub_co_u32_e32 v5, vcc, v5, v9
	v_subb_co_u32_e32 v4, vcc, v6, v4, vcc
	s_waitcnt lgkmcnt(0)
	v_mul_lo_u32 v4, s0, v4
	v_mul_lo_u32 v6, s1, v5
	v_mad_u64_u32 v[1:2], s[0:1], s0, v5, v[1:2]
	s_addc_u32 s15, s15, 0
	s_add_u32 s6, s6, 8
	v_add3_u32 v2, v6, v2, v4
	v_mov_b32_e32 v4, s10
	v_mov_b32_e32 v5, s11
	s_addc_u32 s7, s7, 0
	v_cmp_ge_u64_e32 vcc, s[14:15], v[4:5]
	s_add_u32 s16, s16, 8
	s_addc_u32 s17, s17, 0
	s_cbranch_vccnz .LBB0_8
; %bb.7:                                ;   in Loop: Header=BB0_2 Depth=1
	v_mov_b32_e32 v5, v7
	v_mov_b32_e32 v6, v8
	s_branch .LBB0_2
.LBB0_8:
	s_lshl_b64 s[0:1], s[10:11], 3
	s_add_u32 s0, s12, s0
	s_addc_u32 s1, s13, s1
	s_load_dwordx2 s[6:7], s[0:1], 0x0
	s_load_dwordx2 s[10:11], s[4:5], 0x20
	v_mov_b32_e32 v74, 0
                                        ; implicit-def: $vgpr26_vgpr27
                                        ; implicit-def: $vgpr30_vgpr31
                                        ; implicit-def: $vgpr34_vgpr35
                                        ; implicit-def: $vgpr38_vgpr39
                                        ; implicit-def: $vgpr42_vgpr43
                                        ; implicit-def: $vgpr46_vgpr47
                                        ; implicit-def: $vgpr50_vgpr51
                                        ; implicit-def: $vgpr54_vgpr55
                                        ; implicit-def: $vgpr58_vgpr59
                                        ; implicit-def: $vgpr18_vgpr19
                                        ; implicit-def: $vgpr14_vgpr15
                                        ; implicit-def: $vgpr10_vgpr11
	s_waitcnt lgkmcnt(0)
	v_mad_u64_u32 v[72:73], s[0:1], s6, v7, v[1:2]
	s_mov_b32 s0, 0x3f03f04
	v_mul_hi_u32 v1, v0, s0
	v_mul_lo_u32 v3, s6, v8
	v_mul_lo_u32 v4, s7, v7
	v_cmp_gt_u64_e64 s[0:1], s[10:11], v[7:8]
	v_mul_u32_u24_e32 v1, 0x41, v1
	v_sub_u32_e32 v75, v0, v1
	v_add3_u32 v73, v4, v73, v3
                                        ; implicit-def: $vgpr2_vgpr3
	s_and_saveexec_b64 s[4:5], s[0:1]
	s_cbranch_execz .LBB0_12
; %bb.9:
	v_cmp_gt_u32_e32 vcc, 45, v75
                                        ; implicit-def: $vgpr0_vgpr1
                                        ; implicit-def: $vgpr8_vgpr9
                                        ; implicit-def: $vgpr12_vgpr13
                                        ; implicit-def: $vgpr16_vgpr17
                                        ; implicit-def: $vgpr56_vgpr57
                                        ; implicit-def: $vgpr52_vgpr53
                                        ; implicit-def: $vgpr48_vgpr49
                                        ; implicit-def: $vgpr44_vgpr45
                                        ; implicit-def: $vgpr40_vgpr41
                                        ; implicit-def: $vgpr36_vgpr37
                                        ; implicit-def: $vgpr32_vgpr33
                                        ; implicit-def: $vgpr28_vgpr29
                                        ; implicit-def: $vgpr24_vgpr25
	s_and_saveexec_b64 s[6:7], vcc
	s_cbranch_execz .LBB0_11
; %bb.10:
	v_lshlrev_b64 v[0:1], 4, v[72:73]
	v_mov_b32_e32 v76, 0
	v_mov_b32_e32 v2, s3
	v_add_co_u32_e32 v3, vcc, s2, v0
	v_addc_co_u32_e32 v2, vcc, v2, v1, vcc
	v_lshlrev_b64 v[0:1], 4, v[75:76]
	s_movk_i32 s10, 0x1000
	v_add_co_u32_e32 v4, vcc, v3, v0
	v_addc_co_u32_e32 v5, vcc, v2, v1, vcc
	v_add_co_u32_e32 v6, vcc, s10, v4
	v_addc_co_u32_e32 v7, vcc, 0, v5, vcc
	v_add_co_u32_e32 v20, vcc, 0x2000, v4
	global_load_dwordx4 v[0:3], v[4:5], off
	global_load_dwordx4 v[8:11], v[4:5], off offset:720
	global_load_dwordx4 v[12:15], v[4:5], off offset:1440
	;; [unrolled: 1-line block ×3, first 2 shown]
	v_addc_co_u32_e32 v21, vcc, 0, v5, vcc
	global_load_dwordx4 v[56:59], v[4:5], off offset:2880
	global_load_dwordx4 v[52:55], v[4:5], off offset:3600
	;; [unrolled: 1-line block ×9, first 2 shown]
.LBB0_11:
	s_or_b64 exec, exec, s[6:7]
	v_mov_b32_e32 v74, v75
.LBB0_12:
	s_or_b64 exec, exec, s[4:5]
	s_waitcnt vmcnt(0)
	v_add_f64 v[78:79], v[10:11], -v[26:27]
	s_mov_b32 s4, 0x2ef20147
	s_mov_b32 s5, 0xbfedeba7
	v_add_f64 v[80:81], v[24:25], v[8:9]
	v_add_f64 v[82:83], v[14:15], -v[30:31]
	s_mov_b32 s6, 0xb2365da1
	s_mov_b32 s12, 0x24c2f84
	;; [unrolled: 1-line block ×3, first 2 shown]
	v_mul_f64 v[128:129], v[78:79], s[4:5]
	s_mov_b32 s13, 0xbfe5384d
	s_mov_b32 s11, 0x3fe5384d
	;; [unrolled: 1-line block ×3, first 2 shown]
	v_add_f64 v[84:85], v[28:29], v[12:13]
	v_mul_f64 v[126:127], v[82:83], s[10:11]
	v_add_f64 v[88:89], v[18:19], -v[34:35]
	s_mov_b32 s14, 0xd0032e0c
	v_fma_f64 v[4:5], v[80:81], s[6:7], -v[128:129]
	s_mov_b32 s16, 0x4267c47c
	s_mov_b32 s15, 0xbfe7f3cc
	;; [unrolled: 1-line block ×3, first 2 shown]
	v_add_f64 v[100:101], v[8:9], -v[24:25]
	v_fma_f64 v[6:7], v[84:85], s[14:15], -v[126:127]
	v_add_f64 v[92:93], v[32:33], v[16:17]
	v_mul_f64 v[130:131], v[88:89], s[16:17]
	v_add_f64 v[4:5], v[0:1], v[4:5]
	v_add_f64 v[94:95], v[58:59], -v[38:39]
	s_mov_b32 s18, 0xe00740e9
	s_mov_b32 s20, 0x66966769
	;; [unrolled: 1-line block ×6, first 2 shown]
	v_add_f64 v[86:87], v[26:27], v[10:11]
	v_mul_f64 v[132:133], v[100:101], s[4:5]
	v_add_f64 v[102:103], v[12:13], -v[28:29]
	v_add_f64 v[4:5], v[6:7], v[4:5]
	v_fma_f64 v[22:23], v[92:93], s[18:19], -v[130:131]
	v_add_f64 v[104:105], v[36:37], v[56:57]
	v_mul_f64 v[136:137], v[94:95], s[22:23]
	v_add_f64 v[106:107], v[54:55], -v[42:43]
	s_mov_b32 s24, 0xebaa3ed8
	s_mov_b32 s28, 0x4bc48dbf
	;; [unrolled: 1-line block ×6, first 2 shown]
	v_fma_f64 v[20:21], v[86:87], s[6:7], v[132:133]
	v_add_f64 v[90:91], v[30:31], v[14:15]
	v_mul_f64 v[134:135], v[102:103], s[10:11]
	v_add_f64 v[96:97], v[16:17], -v[32:33]
	v_add_f64 v[4:5], v[22:23], v[4:5]
	v_fma_f64 v[22:23], v[104:105], s[24:25], -v[136:137]
	v_add_f64 v[116:117], v[40:41], v[52:53]
	v_mul_f64 v[140:141], v[106:107], s[26:27]
	s_mov_b32 s30, 0x93053d00
	s_mov_b32 s31, 0xbfef11f4
	v_add_f64 v[6:7], v[2:3], v[20:21]
	v_fma_f64 v[20:21], v[90:91], s[14:15], v[134:135]
	v_add_f64 v[98:99], v[34:35], v[18:19]
	v_mul_f64 v[138:139], v[96:97], s[16:17]
	v_add_f64 v[110:111], v[56:57], -v[36:37]
	v_add_f64 v[4:5], v[22:23], v[4:5]
	v_fma_f64 v[22:23], v[116:117], s[30:31], -v[140:141]
	v_add_f64 v[108:109], v[38:39], v[58:59]
	v_add_f64 v[118:119], v[52:53], -v[40:41]
	v_add_f64 v[6:7], v[20:21], v[6:7]
	v_add_f64 v[114:115], v[50:51], -v[46:47]
	v_fma_f64 v[20:21], v[98:99], s[18:19], v[138:139]
	v_mul_f64 v[142:143], v[110:111], s[22:23]
	s_mov_b32 s34, 0x42a4c3d2
	v_add_f64 v[4:5], v[22:23], v[4:5]
	v_mul_f64 v[22:23], v[78:79], s[12:13]
	s_mov_b32 s35, 0xbfea55e2
	s_mov_b32 s37, 0x3fea55e2
	;; [unrolled: 1-line block ×3, first 2 shown]
	v_add_f64 v[6:7], v[20:21], v[6:7]
	v_fma_f64 v[20:21], v[108:109], s[24:25], v[142:143]
	v_add_f64 v[112:113], v[42:43], v[54:55]
	v_mul_f64 v[144:145], v[118:119], s[26:27]
	v_add_f64 v[122:123], v[44:45], v[48:49]
	v_mul_f64 v[146:147], v[114:115], s[36:37]
	v_add_f64 v[124:125], v[48:49], -v[44:45]
	v_mul_f64 v[60:61], v[100:101], s[12:13]
	v_fma_f64 v[62:63], v[80:81], s[14:15], v[22:23]
	v_mul_f64 v[64:65], v[82:83], s[20:21]
	s_mov_b32 s38, 0x1ea71119
	s_mov_b32 s39, 0x3fe22d96
	v_add_f64 v[6:7], v[20:21], v[6:7]
	v_fma_f64 v[20:21], v[112:113], s[30:31], v[144:145]
	v_fma_f64 v[66:67], v[122:123], s[38:39], -v[146:147]
	v_add_f64 v[120:121], v[46:47], v[50:51]
	v_mul_f64 v[148:149], v[124:125], s[36:37]
	v_fma_f64 v[68:69], v[86:87], s[14:15], -v[60:61]
	v_mul_f64 v[70:71], v[102:103], s[20:21]
	v_add_f64 v[62:63], v[0:1], v[62:63]
	v_fma_f64 v[150:151], v[84:85], s[24:25], v[64:65]
	v_mul_f64 v[152:153], v[88:89], s[34:35]
	v_add_f64 v[6:7], v[20:21], v[6:7]
	v_add_f64 v[20:21], v[66:67], v[4:5]
	v_fma_f64 v[4:5], v[120:121], s[38:39], v[148:149]
	v_add_f64 v[66:67], v[2:3], v[68:69]
	v_fma_f64 v[68:69], v[90:91], s[24:25], -v[70:71]
	v_mul_f64 v[154:155], v[96:97], s[34:35]
	v_add_f64 v[62:63], v[150:151], v[62:63]
	v_fma_f64 v[150:151], v[92:93], s[38:39], v[152:153]
	v_mul_f64 v[156:157], v[94:95], s[26:27]
	v_fma_f64 v[158:159], v[80:81], s[14:15], -v[22:23]
	v_add_f64 v[22:23], v[4:5], v[6:7]
	v_fma_f64 v[4:5], v[86:87], s[14:15], v[60:61]
	v_add_f64 v[6:7], v[68:69], v[66:67]
	v_fma_f64 v[60:61], v[98:99], s[38:39], -v[154:155]
	v_mul_f64 v[66:67], v[110:111], s[26:27]
	v_add_f64 v[62:63], v[150:151], v[62:63]
	v_fma_f64 v[68:69], v[104:105], s[30:31], v[156:157]
	v_add_f64 v[150:151], v[0:1], v[158:159]
	v_fma_f64 v[64:65], v[84:85], s[24:25], -v[64:65]
	v_add_f64 v[4:5], v[2:3], v[4:5]
	v_fma_f64 v[70:71], v[90:91], s[24:25], v[70:71]
	v_add_f64 v[6:7], v[60:61], v[6:7]
	v_fma_f64 v[60:61], v[108:109], s[30:31], -v[66:67]
	v_mul_f64 v[158:159], v[106:107], s[16:17]
	v_mul_f64 v[160:161], v[118:119], s[16:17]
	v_add_f64 v[62:63], v[68:69], v[62:63]
	v_add_f64 v[64:65], v[64:65], v[150:151]
	v_fma_f64 v[68:69], v[92:93], s[38:39], -v[152:153]
	v_add_f64 v[4:5], v[70:71], v[4:5]
	v_fma_f64 v[70:71], v[98:99], s[38:39], v[154:155]
	v_add_f64 v[6:7], v[60:61], v[6:7]
	v_fma_f64 v[60:61], v[116:117], s[18:19], v[158:159]
	v_fma_f64 v[150:151], v[112:113], s[18:19], -v[160:161]
	v_mul_f64 v[152:153], v[114:115], s[4:5]
	v_mul_f64 v[154:155], v[124:125], s[4:5]
	v_add_f64 v[64:65], v[68:69], v[64:65]
	v_fma_f64 v[68:69], v[104:105], s[30:31], -v[156:157]
	v_add_f64 v[4:5], v[70:71], v[4:5]
	v_fma_f64 v[66:67], v[108:109], s[30:31], v[66:67]
	v_add_f64 v[60:61], v[60:61], v[62:63]
	v_add_f64 v[6:7], v[150:151], v[6:7]
	v_fma_f64 v[62:63], v[122:123], s[6:7], v[152:153]
	v_mul_f64 v[70:71], v[78:79], s[28:29]
	v_fma_f64 v[150:151], v[120:121], s[6:7], -v[154:155]
	v_add_f64 v[64:65], v[68:69], v[64:65]
	v_mul_f64 v[68:69], v[100:101], s[28:29]
	v_add_f64 v[66:67], v[66:67], v[4:5]
	v_fma_f64 v[156:157], v[116:117], s[18:19], -v[158:159]
	v_fma_f64 v[158:159], v[112:113], s[18:19], v[160:161]
	v_add_f64 v[4:5], v[62:63], v[60:61]
	v_fma_f64 v[60:61], v[80:81], s[30:31], v[70:71]
	v_add_f64 v[6:7], v[150:151], v[6:7]
	v_mul_f64 v[62:63], v[82:83], s[16:17]
	v_fma_f64 v[150:151], v[86:87], s[30:31], -v[68:69]
	v_mul_f64 v[160:161], v[102:103], s[16:17]
	v_fma_f64 v[70:71], v[80:81], s[30:31], -v[70:71]
	v_fma_f64 v[68:69], v[86:87], s[30:31], v[68:69]
	v_add_f64 v[64:65], v[156:157], v[64:65]
	v_add_f64 v[66:67], v[158:159], v[66:67]
	;; [unrolled: 1-line block ×3, first 2 shown]
	v_fma_f64 v[156:157], v[84:85], s[18:19], v[62:63]
	v_add_f64 v[150:151], v[2:3], v[150:151]
	v_fma_f64 v[158:159], v[90:91], s[18:19], -v[160:161]
	v_mul_f64 v[162:163], v[88:89], s[12:13]
	v_mul_f64 v[164:165], v[96:97], s[12:13]
	v_add_f64 v[70:71], v[0:1], v[70:71]
	v_fma_f64 v[62:63], v[84:85], s[18:19], -v[62:63]
	v_add_f64 v[68:69], v[2:3], v[68:69]
	v_fma_f64 v[160:161], v[90:91], s[18:19], v[160:161]
	v_add_f64 v[60:61], v[156:157], v[60:61]
	v_add_f64 v[150:151], v[158:159], v[150:151]
	v_fma_f64 v[156:157], v[92:93], s[14:15], v[162:163]
	v_fma_f64 v[158:159], v[98:99], s[14:15], -v[164:165]
	v_mul_f64 v[166:167], v[94:95], s[36:37]
	v_mul_f64 v[168:169], v[110:111], s[36:37]
	v_add_f64 v[62:63], v[62:63], v[70:71]
	v_add_f64 v[68:69], v[160:161], v[68:69]
	v_fma_f64 v[70:71], v[92:93], s[14:15], -v[162:163]
	v_fma_f64 v[160:161], v[98:99], s[14:15], v[164:165]
	v_add_f64 v[60:61], v[156:157], v[60:61]
	v_add_f64 v[150:151], v[158:159], v[150:151]
	v_fma_f64 v[156:157], v[104:105], s[38:39], v[166:167]
	v_fma_f64 v[158:159], v[108:109], s[38:39], -v[168:169]
	v_mul_f64 v[162:163], v[106:107], s[4:5]
	v_mul_f64 v[164:165], v[118:119], s[4:5]
	v_add_f64 v[62:63], v[70:71], v[62:63]
	v_add_f64 v[68:69], v[160:161], v[68:69]
	v_fma_f64 v[70:71], v[104:105], s[38:39], -v[166:167]
	;; [unrolled: 10-line block ×3, first 2 shown]
	v_fma_f64 v[160:161], v[112:113], s[6:7], v[164:165]
	v_fma_f64 v[152:153], v[122:123], s[6:7], -v[152:153]
	v_fma_f64 v[154:155], v[120:121], s[6:7], v[154:155]
	v_add_f64 v[60:61], v[156:157], v[60:61]
	v_add_f64 v[150:151], v[158:159], v[150:151]
	v_fma_f64 v[156:157], v[122:123], s[24:25], v[166:167]
	v_fma_f64 v[158:159], v[120:121], s[24:25], -v[168:169]
	v_add_f64 v[162:163], v[70:71], v[62:63]
	v_add_f64 v[160:161], v[160:161], v[68:69]
	v_fma_f64 v[164:165], v[122:123], s[24:25], -v[166:167]
	v_fma_f64 v[166:167], v[120:121], s[24:25], v[168:169]
	s_mov_b32 s33, 0xaaaaaaab
	v_mul_hi_u32 v76, v77, s33
	v_add_f64 v[68:69], v[152:153], v[64:65]
	v_add_f64 v[70:71], v[154:155], v[66:67]
	;; [unrolled: 1-line block ×6, first 2 shown]
	v_lshrrev_b32_e32 v76, 1, v76
	v_lshl_add_u32 v76, v76, 1, v76
	v_sub_u32_e32 v76, v77, v76
	v_mul_u32_u24_e32 v76, 0x249, v76
	v_cmp_gt_u32_e32 vcc, 45, v75
	v_lshlrev_b32_e32 v76, 4, v76
	s_and_saveexec_b64 s[40:41], vcc
	s_cbranch_execz .LBB0_14
; %bb.13:
	v_mul_f64 v[150:151], v[86:87], s[6:7]
	v_mul_f64 v[152:153], v[80:81], s[6:7]
	;; [unrolled: 1-line block ×8, first 2 shown]
	v_add_f64 v[132:133], v[150:151], -v[132:133]
	v_add_f64 v[128:129], v[128:129], v[152:153]
	v_add_f64 v[134:135], v[156:157], -v[134:135]
	v_add_f64 v[126:127], v[126:127], v[154:155]
	v_add_f64 v[138:139], v[160:161], -v[138:139]
	v_mul_f64 v[162:163], v[104:105], s[24:25]
	v_add_f64 v[130:131], v[130:131], v[158:159]
	v_fma_f64 v[160:161], v[86:87], s[24:25], v[172:173]
	v_add_f64 v[132:133], v[2:3], v[132:133]
	v_add_f64 v[128:129], v[0:1], v[128:129]
	v_mul_f64 v[158:159], v[80:81], s[24:25]
	s_mov_b32 s43, 0x3fedeba7
	s_mov_b32 s42, s4
	v_mul_f64 v[166:167], v[112:113], s[30:31]
	v_mul_f64 v[170:171], v[120:121], s[38:39]
	v_add_f64 v[160:161], v[2:3], v[160:161]
	v_add_f64 v[132:133], v[134:135], v[132:133]
	v_mul_f64 v[134:135], v[102:103], s[28:29]
	v_add_f64 v[126:127], v[126:127], v[128:129]
	v_add_f64 v[128:129], v[164:165], -v[142:143]
	v_add_f64 v[136:137], v[136:137], v[162:163]
	v_mul_f64 v[150:151], v[116:117], s[30:31]
	v_mul_f64 v[156:157], v[110:111], s[16:17]
	;; [unrolled: 1-line block ×3, first 2 shown]
	v_add_f64 v[132:133], v[138:139], v[132:133]
	v_mul_f64 v[138:139], v[96:97], s[42:43]
	v_fma_f64 v[142:143], v[90:91], s[30:31], v[134:135]
	v_add_f64 v[126:127], v[130:131], v[126:127]
	v_mul_f64 v[130:131], v[84:85], s[30:31]
	v_add_f64 v[144:145], v[166:167], -v[144:145]
	v_mul_f64 v[168:169], v[122:123], s[38:39]
	v_mul_f64 v[152:153], v[118:119], s[34:35]
	v_add_f64 v[128:129], v[128:129], v[132:133]
	v_fma_f64 v[132:133], v[78:79], s[20:21], v[158:159]
	v_fma_f64 v[162:163], v[98:99], s[6:7], v[138:139]
	v_add_f64 v[142:143], v[142:143], v[160:161]
	v_add_f64 v[126:127], v[136:137], v[126:127]
	v_add_f64 v[136:137], v[170:171], -v[148:149]
	v_fma_f64 v[148:149], v[82:83], s[26:27], v[130:131]
	v_add_f64 v[140:141], v[140:141], v[150:151]
	v_add_f64 v[128:129], v[144:145], v[128:129]
	;; [unrolled: 1-line block ×3, first 2 shown]
	v_fma_f64 v[144:145], v[108:109], s[18:19], v[156:157]
	v_add_f64 v[142:143], v[162:163], v[142:143]
	v_mul_f64 v[150:151], v[104:105], s[18:19]
	v_fma_f64 v[160:161], v[88:89], s[4:5], v[154:155]
	v_fma_f64 v[164:165], v[86:87], s[24:25], -v[172:173]
	v_fma_f64 v[158:159], v[78:79], s[22:23], v[158:159]
	s_mov_b32 s45, 0xbfddbe06
	v_add_f64 v[132:133], v[148:149], v[132:133]
	s_mov_b32 s44, s16
	v_add_f64 v[146:147], v[146:147], v[168:169]
	v_add_f64 v[126:127], v[140:141], v[126:127]
	v_mul_f64 v[140:141], v[124:125], s[12:13]
	v_fma_f64 v[148:149], v[112:113], s[38:39], v[152:153]
	v_add_f64 v[142:143], v[144:145], v[142:143]
	v_mul_f64 v[144:145], v[116:117], s[38:39]
	v_fma_f64 v[162:163], v[94:95], s[44:45], v[150:151]
	v_add_f64 v[132:133], v[160:161], v[132:133]
	v_fma_f64 v[134:135], v[90:91], s[30:31], -v[134:135]
	v_add_f64 v[164:165], v[2:3], v[164:165]
	v_fma_f64 v[130:131], v[82:83], s[28:29], v[130:131]
	v_add_f64 v[158:159], v[0:1], v[158:159]
	v_add_f64 v[10:11], v[10:11], v[2:3]
	;; [unrolled: 1-line block ×3, first 2 shown]
	v_fma_f64 v[160:161], v[120:121], s[14:15], v[140:141]
	v_add_f64 v[142:143], v[148:149], v[142:143]
	v_add_f64 v[128:129], v[136:137], v[128:129]
	v_fma_f64 v[136:137], v[106:107], s[36:37], v[144:145]
	v_add_f64 v[162:163], v[162:163], v[132:133]
	v_add_f64 v[126:127], v[146:147], v[126:127]
	v_mul_f64 v[146:147], v[100:101], s[34:35]
	v_fma_f64 v[138:139], v[98:99], s[6:7], -v[138:139]
	v_add_f64 v[134:135], v[134:135], v[164:165]
	v_fma_f64 v[154:155], v[88:89], s[42:43], v[154:155]
	v_add_f64 v[130:131], v[130:131], v[158:159]
	v_add_f64 v[10:11], v[14:15], v[10:11]
	;; [unrolled: 1-line block ×3, first 2 shown]
	v_mul_f64 v[148:149], v[122:123], s[14:15]
	v_add_f64 v[132:133], v[160:161], v[142:143]
	v_add_f64 v[136:137], v[136:137], v[162:163]
	v_fma_f64 v[156:157], v[108:109], s[18:19], -v[156:157]
	v_mul_f64 v[160:161], v[102:103], s[4:5]
	v_fma_f64 v[162:163], v[86:87], s[38:39], v[146:147]
	v_add_f64 v[134:135], v[138:139], v[134:135]
	v_fma_f64 v[138:139], v[112:113], s[38:39], -v[152:153]
	v_mul_f64 v[152:153], v[80:81], s[38:39]
	v_fma_f64 v[150:151], v[94:95], s[16:17], v[150:151]
	v_add_f64 v[130:131], v[154:155], v[130:131]
	v_add_f64 v[10:11], v[18:19], v[10:11]
	;; [unrolled: 1-line block ×3, first 2 shown]
	v_fma_f64 v[142:143], v[114:115], s[10:11], v[148:149]
	v_mul_f64 v[164:165], v[96:97], s[28:29]
	v_fma_f64 v[166:167], v[90:91], s[6:7], v[160:161]
	v_add_f64 v[162:163], v[2:3], v[162:163]
	v_add_f64 v[134:135], v[156:157], v[134:135]
	v_mul_f64 v[156:157], v[84:85], s[6:7]
	v_fma_f64 v[158:159], v[78:79], s[36:37], v[152:153]
	v_fma_f64 v[144:145], v[106:107], s[34:35], v[144:145]
	v_add_f64 v[130:131], v[150:151], v[130:131]
	v_add_f64 v[58:59], v[58:59], v[10:11]
	;; [unrolled: 1-line block ×3, first 2 shown]
	v_fma_f64 v[140:141], v[120:121], s[14:15], -v[140:141]
	v_mul_f64 v[168:169], v[110:111], s[10:11]
	v_fma_f64 v[170:171], v[98:99], s[30:31], v[164:165]
	v_add_f64 v[162:163], v[166:167], v[162:163]
	v_mul_f64 v[154:155], v[92:93], s[30:31]
	v_fma_f64 v[166:167], v[82:83], s[42:43], v[156:157]
	v_add_f64 v[158:159], v[0:1], v[158:159]
	v_add_f64 v[134:135], v[138:139], v[134:135]
	v_fma_f64 v[138:139], v[114:115], s[12:13], v[148:149]
	v_add_f64 v[144:145], v[144:145], v[130:131]
	v_add_f64 v[130:131], v[142:143], v[136:137]
	v_fma_f64 v[142:143], v[86:87], s[38:39], -v[146:147]
	v_add_f64 v[54:55], v[54:55], v[58:59]
	v_add_f64 v[8:9], v[52:53], v[8:9]
	v_mul_f64 v[172:173], v[118:119], s[20:21]
	v_fma_f64 v[174:175], v[108:109], s[14:15], v[168:169]
	v_add_f64 v[162:163], v[170:171], v[162:163]
	v_fma_f64 v[170:171], v[88:89], s[26:27], v[154:155]
	v_add_f64 v[158:159], v[166:167], v[158:159]
	v_mul_f64 v[166:167], v[124:125], s[16:17]
	v_add_f64 v[136:137], v[140:141], v[134:135]
	v_add_f64 v[134:135], v[138:139], v[144:145]
	v_fma_f64 v[138:139], v[90:91], s[6:7], -v[160:161]
	v_add_f64 v[142:143], v[2:3], v[142:143]
	v_fma_f64 v[152:153], v[78:79], s[34:35], v[152:153]
	v_mul_f64 v[100:101], v[100:101], s[44:45]
	v_mul_f64 v[52:53], v[80:81], s[18:19]
	v_add_f64 v[50:51], v[50:51], v[54:55]
	v_add_f64 v[8:9], v[48:49], v[8:9]
	v_fma_f64 v[176:177], v[112:113], s[24:25], v[172:173]
	v_add_f64 v[162:163], v[174:175], v[162:163]
	v_add_f64 v[158:159], v[170:171], v[158:159]
	v_fma_f64 v[170:171], v[120:121], s[18:19], v[166:167]
	v_fma_f64 v[160:161], v[120:121], s[18:19], -v[166:167]
	v_fma_f64 v[164:165], v[98:99], s[30:31], -v[164:165]
	v_add_f64 v[138:139], v[138:139], v[142:143]
	v_fma_f64 v[142:143], v[82:83], s[4:5], v[156:157]
	v_add_f64 v[152:153], v[0:1], v[152:153]
	v_mul_f64 v[102:103], v[102:103], s[34:35]
	v_fma_f64 v[166:167], v[86:87], s[18:19], v[100:101]
	v_fma_f64 v[86:87], v[86:87], s[18:19], -v[100:101]
	v_mul_f64 v[84:85], v[84:85], s[38:39]
	v_fma_f64 v[48:49], v[78:79], s[44:45], v[52:53]
	v_fma_f64 v[52:53], v[78:79], s[16:17], v[52:53]
	v_add_f64 v[46:47], v[46:47], v[50:51]
	v_add_f64 v[8:9], v[44:45], v[8:9]
	v_mul_f64 v[150:151], v[104:105], s[14:15]
	v_add_f64 v[162:163], v[176:177], v[162:163]
	v_fma_f64 v[156:157], v[108:109], s[14:15], -v[168:169]
	v_add_f64 v[138:139], v[164:165], v[138:139]
	v_fma_f64 v[154:155], v[88:89], s[28:29], v[154:155]
	v_add_f64 v[142:143], v[142:143], v[152:153]
	v_mul_f64 v[96:97], v[96:97], s[22:23]
	v_add_f64 v[164:165], v[2:3], v[166:167]
	v_mul_f64 v[54:55], v[92:93], s[24:25]
	v_fma_f64 v[77:78], v[90:91], s[38:39], -v[102:103]
	v_add_f64 v[2:3], v[2:3], v[86:87]
	v_fma_f64 v[86:87], v[82:83], s[34:35], v[84:85]
	v_add_f64 v[44:45], v[0:1], v[48:49]
	v_fma_f64 v[152:153], v[90:91], s[38:39], v[102:103]
	v_fma_f64 v[48:49], v[82:83], s[36:37], v[84:85]
	v_add_f64 v[0:1], v[0:1], v[52:53]
	v_add_f64 v[42:43], v[42:43], v[46:47]
	;; [unrolled: 1-line block ×3, first 2 shown]
	v_mul_f64 v[148:149], v[116:117], s[24:25]
	v_add_f64 v[140:141], v[170:171], v[162:163]
	v_fma_f64 v[162:163], v[112:113], s[24:25], -v[172:173]
	v_add_f64 v[12:13], v[156:157], v[138:139]
	v_fma_f64 v[14:15], v[94:95], s[10:11], v[150:151]
	v_add_f64 v[138:139], v[154:155], v[142:143]
	v_mul_f64 v[110:111], v[110:111], s[4:5]
	v_mul_f64 v[104:105], v[104:105], s[6:7]
	v_fma_f64 v[50:51], v[98:99], s[24:25], -v[96:97]
	v_add_f64 v[2:3], v[77:78], v[2:3]
	v_fma_f64 v[52:53], v[88:89], s[22:23], v[54:55]
	v_add_f64 v[40:41], v[86:87], v[44:45]
	v_fma_f64 v[174:175], v[94:95], s[12:13], v[150:151]
	v_fma_f64 v[142:143], v[98:99], s[24:25], v[96:97]
	v_add_f64 v[150:151], v[152:153], v[164:165]
	v_fma_f64 v[44:45], v[88:89], s[20:21], v[54:55]
	v_add_f64 v[0:1], v[48:49], v[0:1]
	v_add_f64 v[38:39], v[38:39], v[42:43]
	;; [unrolled: 1-line block ×4, first 2 shown]
	v_fma_f64 v[16:17], v[106:107], s[20:21], v[148:149]
	v_add_f64 v[14:15], v[14:15], v[138:139]
	v_mul_f64 v[18:19], v[118:119], s[12:13]
	v_mul_f64 v[80:81], v[116:117], s[14:15]
	v_fma_f64 v[46:47], v[108:109], s[6:7], -v[110:111]
	v_add_f64 v[2:3], v[50:51], v[2:3]
	v_fma_f64 v[48:49], v[94:95], s[4:5], v[104:105]
	v_add_f64 v[36:37], v[52:53], v[40:41]
	v_fma_f64 v[118:119], v[108:109], s[6:7], v[110:111]
	;; [unrolled: 2-line block ×3, first 2 shown]
	v_add_f64 v[0:1], v[44:45], v[0:1]
	v_add_f64 v[34:35], v[34:35], v[38:39]
	v_add_f64 v[8:9], v[32:33], v[8:9]
	v_add_f64 v[10:11], v[160:161], v[12:13]
	v_add_f64 v[16:17], v[16:17], v[14:15]
	v_mul_f64 v[12:13], v[124:125], s[28:29]
	v_fma_f64 v[14:15], v[112:113], s[14:15], v[18:19]
	v_mul_f64 v[58:59], v[122:123], s[30:31]
	v_fma_f64 v[18:19], v[112:113], s[14:15], -v[18:19]
	v_add_f64 v[2:3], v[46:47], v[2:3]
	v_fma_f64 v[42:43], v[106:107], s[12:13], v[80:81]
	v_add_f64 v[32:33], v[48:49], v[36:37]
	v_mul_f64 v[146:147], v[122:123], s[18:19]
	v_fma_f64 v[176:177], v[106:107], s[22:23], v[148:149]
	v_add_f64 v[158:159], v[174:175], v[158:159]
	v_add_f64 v[118:119], v[118:119], v[138:139]
	v_fma_f64 v[36:37], v[106:107], s[10:11], v[80:81]
	v_add_f64 v[0:1], v[40:41], v[0:1]
	v_add_f64 v[30:31], v[30:31], v[34:35]
	;; [unrolled: 1-line block ×3, first 2 shown]
	v_fma_f64 v[38:39], v[120:121], s[30:31], -v[12:13]
	v_add_f64 v[2:3], v[18:19], v[2:3]
	v_fma_f64 v[18:19], v[114:115], s[28:29], v[58:59]
	v_add_f64 v[28:29], v[42:43], v[32:33]
	v_fma_f64 v[56:57], v[114:115], s[16:17], v[146:147]
	v_fma_f64 v[144:145], v[114:115], s[44:45], v[146:147]
	v_add_f64 v[158:159], v[176:177], v[158:159]
	v_fma_f64 v[32:33], v[120:121], s[30:31], v[12:13]
	v_add_f64 v[34:35], v[14:15], v[118:119]
	;; [unrolled: 2-line block ×3, first 2 shown]
	v_add_f64 v[14:15], v[26:27], v[30:31]
	v_add_f64 v[12:13], v[24:25], v[8:9]
	;; [unrolled: 1-line block ×5, first 2 shown]
	v_mul_u32_u24_e32 v24, 0xd0, v75
	v_add3_u32 v24, 0, v24, v76
	v_add_f64 v[138:139], v[144:145], v[158:159]
	v_add_f64 v[18:19], v[32:33], v[34:35]
	;; [unrolled: 1-line block ×3, first 2 shown]
	ds_write_b128 v24, v[12:15]
	ds_write_b128 v24, v[0:3] offset:16
	ds_write_b128 v24, v[8:11] offset:32
	ds_write_b128 v24, v[134:137] offset:48
	ds_write_b128 v24, v[126:129] offset:64
	ds_write_b128 v24, v[4:7] offset:80
	ds_write_b128 v24, v[60:63] offset:96
	ds_write_b128 v24, v[64:67] offset:112
	ds_write_b128 v24, v[68:71] offset:128
	ds_write_b128 v24, v[20:23] offset:144
	ds_write_b128 v24, v[130:133] offset:160
	ds_write_b128 v24, v[138:141] offset:176
	ds_write_b128 v24, v[16:19] offset:192
.LBB0_14:
	s_or_b64 exec, exec, s[40:41]
	v_lshlrev_b32_e32 v0, 4, v75
	v_add3_u32 v28, 0, v76, v0
	s_waitcnt lgkmcnt(0)
	s_barrier
	v_add3_u32 v29, 0, v0, v76
	ds_read_b128 v[0:3], v28
	ds_read_b128 v[24:27], v29 offset:1872
	ds_read_b128 v[16:19], v29 offset:3744
	;; [unrolled: 1-line block ×4, first 2 shown]
	v_cmp_gt_u32_e32 vcc, 52, v75
	s_and_saveexec_b64 s[4:5], vcc
	s_cbranch_execz .LBB0_16
; %bb.15:
	ds_read_b128 v[4:7], v29 offset:1040
	ds_read_b128 v[60:63], v29 offset:2912
	;; [unrolled: 1-line block ×5, first 2 shown]
.LBB0_16:
	s_or_b64 exec, exec, s[4:5]
	s_movk_i32 s19, 0x4f
	v_mul_lo_u16_sdwa v30, v75, s19 dst_sel:DWORD dst_unused:UNUSED_PAD src0_sel:BYTE_0 src1_sel:DWORD
	v_lshrrev_b16_e32 v56, 10, v30
	v_mul_lo_u16_e32 v30, 13, v56
	v_sub_u16_e32 v57, v75, v30
	v_mov_b32_e32 v31, 6
	v_lshlrev_b32_sdwa v30, v31, v57 dst_sel:DWORD dst_unused:UNUSED_PAD src0_sel:DWORD src1_sel:BYTE_0
	global_load_dwordx4 v[32:35], v30, s[8:9]
	global_load_dwordx4 v[36:39], v30, s[8:9] offset:16
	global_load_dwordx4 v[40:43], v30, s[8:9] offset:32
	global_load_dwordx4 v[44:47], v30, s[8:9] offset:48
	s_movk_i32 s18, 0x410
	v_mov_b32_e32 v30, 4
	v_mad_u32_u24 v81, v56, s18, 0
	v_lshlrev_b32_sdwa v82, v30, v57 dst_sel:DWORD dst_unused:UNUSED_PAD src0_sel:DWORD src1_sel:BYTE_0
	s_mov_b32 s10, 0x134454ff
	s_mov_b32 s11, 0xbfee6f0e
	;; [unrolled: 1-line block ×10, first 2 shown]
	s_waitcnt vmcnt(0) lgkmcnt(0)
	s_barrier
	v_mul_f64 v[48:49], v[26:27], v[34:35]
	v_mul_f64 v[34:35], v[24:25], v[34:35]
	;; [unrolled: 1-line block ×8, first 2 shown]
	v_fma_f64 v[24:25], v[24:25], v[32:33], v[48:49]
	v_fma_f64 v[26:27], v[26:27], v[32:33], -v[34:35]
	v_fma_f64 v[16:17], v[16:17], v[36:37], v[50:51]
	v_fma_f64 v[18:19], v[18:19], v[36:37], -v[38:39]
	;; [unrolled: 2-line block ×3, first 2 shown]
	v_fma_f64 v[14:15], v[14:15], v[40:41], -v[42:43]
	v_fma_f64 v[8:9], v[8:9], v[44:45], v[46:47]
	v_add_f64 v[32:33], v[0:1], v[24:25]
	v_add_f64 v[50:51], v[2:3], v[26:27]
	v_add_f64 v[40:41], v[24:25], -v[16:17]
	v_add_f64 v[46:47], v[16:17], -v[24:25]
	v_add_f64 v[34:35], v[16:17], v[12:13]
	v_add_f64 v[77:78], v[26:27], v[10:11]
	;; [unrolled: 1-line block ×3, first 2 shown]
	v_add_f64 v[42:43], v[8:9], -v[12:13]
	v_add_f64 v[44:45], v[24:25], v[8:9]
	v_add_f64 v[36:37], v[26:27], -v[10:11]
	v_add_f64 v[38:39], v[18:19], -v[14:15]
	;; [unrolled: 1-line block ×6, first 2 shown]
	v_add_f64 v[16:17], v[32:33], v[16:17]
	v_fma_f64 v[32:33], v[34:35], -0.5, v[0:1]
	v_add_f64 v[34:35], v[40:41], v[42:43]
	v_add_f64 v[18:19], v[50:51], v[18:19]
	v_fma_f64 v[42:43], v[52:53], -0.5, v[2:3]
	v_add_f64 v[48:49], v[12:13], -v[8:9]
	v_fma_f64 v[0:1], v[44:45], -0.5, v[0:1]
	v_fma_f64 v[2:3], v[77:78], -0.5, v[2:3]
	v_add_f64 v[58:59], v[10:11], -v[14:15]
	v_add_f64 v[79:80], v[14:15], -v[10:11]
	v_add_f64 v[12:13], v[16:17], v[12:13]
	v_fma_f64 v[16:17], v[36:37], s[10:11], v[32:33]
	v_add_f64 v[14:15], v[18:19], v[14:15]
	v_fma_f64 v[18:19], v[24:25], s[14:15], v[42:43]
	;; [unrolled: 2-line block ×3, first 2 shown]
	v_fma_f64 v[50:51], v[54:55], s[10:11], v[2:3]
	v_fma_f64 v[32:33], v[36:37], s[14:15], v[32:33]
	;; [unrolled: 1-line block ×5, first 2 shown]
	v_add_f64 v[44:45], v[56:57], v[58:59]
	v_add_f64 v[0:1], v[12:13], v[8:9]
	v_fma_f64 v[8:9], v[38:39], s[6:7], v[16:17]
	v_add_f64 v[2:3], v[14:15], v[10:11]
	v_fma_f64 v[10:11], v[54:55], s[12:13], v[18:19]
	;; [unrolled: 2-line block ×3, first 2 shown]
	v_fma_f64 v[14:15], v[24:25], s[12:13], v[50:51]
	v_fma_f64 v[12:13], v[38:39], s[12:13], v[32:33]
	;; [unrolled: 1-line block ×13, first 2 shown]
	v_add3_u32 v32, v81, v82, v76
	ds_write_b128 v32, v[0:3]
	ds_write_b128 v32, v[8:11] offset:208
	ds_write_b128 v32, v[16:19] offset:416
	ds_write_b128 v32, v[24:27] offset:624
	ds_write_b128 v32, v[12:15] offset:832
	s_and_saveexec_b64 s[16:17], vcc
	s_cbranch_execz .LBB0_18
; %bb.17:
	v_add_u16_e32 v0, 0x41, v75
	v_mul_lo_u16_sdwa v1, v0, s19 dst_sel:DWORD dst_unused:UNUSED_PAD src0_sel:BYTE_0 src1_sel:DWORD
	v_lshrrev_b16_e32 v55, 10, v1
	v_mul_lo_u16_e32 v1, 13, v55
	v_sub_u16_e32 v56, v0, v1
	v_lshlrev_b32_sdwa v24, v31, v56 dst_sel:DWORD dst_unused:UNUSED_PAD src0_sel:DWORD src1_sel:BYTE_0
	global_load_dwordx4 v[0:3], v24, s[8:9] offset:16
	global_load_dwordx4 v[8:11], v24, s[8:9]
	global_load_dwordx4 v[12:15], v24, s[8:9] offset:32
	global_load_dwordx4 v[16:19], v24, s[8:9] offset:48
	s_waitcnt vmcnt(3)
	v_mul_f64 v[24:25], v[64:65], v[2:3]
	s_waitcnt vmcnt(2)
	v_mul_f64 v[26:27], v[60:61], v[10:11]
	;; [unrolled: 2-line block ×4, first 2 shown]
	v_mul_f64 v[2:3], v[66:67], v[2:3]
	v_mul_f64 v[14:15], v[70:71], v[14:15]
	;; [unrolled: 1-line block ×4, first 2 shown]
	v_fma_f64 v[24:25], v[66:67], v[0:1], -v[24:25]
	v_fma_f64 v[26:27], v[62:63], v[8:9], -v[26:27]
	;; [unrolled: 1-line block ×4, first 2 shown]
	v_fma_f64 v[0:1], v[64:65], v[0:1], v[2:3]
	v_fma_f64 v[2:3], v[68:69], v[12:13], v[14:15]
	;; [unrolled: 1-line block ×4, first 2 shown]
	v_add_f64 v[12:13], v[24:25], -v[26:27]
	v_add_f64 v[33:34], v[26:27], -v[24:25]
	;; [unrolled: 1-line block ×3, first 2 shown]
	v_add_f64 v[18:19], v[26:27], v[22:23]
	v_add_f64 v[35:36], v[22:23], -v[31:32]
	v_add_f64 v[37:38], v[24:25], v[31:32]
	v_add_f64 v[45:46], v[8:9], v[10:11]
	;; [unrolled: 1-line block ×4, first 2 shown]
	v_add_f64 v[20:21], v[8:9], -v[10:11]
	v_add_f64 v[41:42], v[0:1], -v[8:9]
	;; [unrolled: 1-line block ×3, first 2 shown]
	v_add_f64 v[8:9], v[4:5], v[8:9]
	v_add_f64 v[16:17], v[0:1], -v[2:3]
	v_add_f64 v[43:44], v[2:3], -v[10:11]
	;; [unrolled: 1-line block ×3, first 2 shown]
	v_add_f64 v[12:13], v[12:13], v[14:15]
	v_fma_f64 v[14:15], v[18:19], -0.5, v[6:7]
	v_add_f64 v[18:19], v[33:34], v[35:36]
	v_fma_f64 v[6:7], v[37:38], -0.5, v[6:7]
	v_fma_f64 v[35:36], v[45:46], -0.5, v[4:5]
	v_fma_f64 v[4:5], v[53:54], -0.5, v[4:5]
	v_add_f64 v[47:48], v[24:25], -v[31:32]
	v_add_f64 v[24:25], v[39:40], v[24:25]
	v_add_f64 v[0:1], v[8:9], v[0:1]
	v_add_f64 v[51:52], v[10:11], -v[2:3]
	v_add_f64 v[33:34], v[41:42], v[43:44]
	v_fma_f64 v[8:9], v[16:17], s[14:15], v[14:15]
	v_fma_f64 v[14:15], v[16:17], s[10:11], v[14:15]
	;; [unrolled: 1-line block ×6, first 2 shown]
	v_add_f64 v[24:25], v[24:25], v[31:32]
	v_fma_f64 v[31:32], v[47:48], s[10:11], v[35:36]
	v_fma_f64 v[35:36], v[47:48], s[14:15], v[35:36]
	v_add_f64 v[0:1], v[0:1], v[2:3]
	v_add_f64 v[37:38], v[49:50], v[51:52]
	v_fma_f64 v[8:9], v[20:21], s[6:7], v[8:9]
	v_fma_f64 v[14:15], v[20:21], s[12:13], v[14:15]
	;; [unrolled: 1-line block ×5, first 2 shown]
	v_add_f64 v[2:3], v[24:25], v[22:23]
	v_fma_f64 v[24:25], v[26:27], s[6:7], v[35:36]
	v_fma_f64 v[22:23], v[26:27], s[12:13], v[31:32]
	;; [unrolled: 1-line block ×3, first 2 shown]
	v_add_f64 v[0:1], v[0:1], v[10:11]
	v_fma_f64 v[10:11], v[12:13], s[4:5], v[14:15]
	v_fma_f64 v[14:15], v[18:19], s[4:5], v[20:21]
	;; [unrolled: 1-line block ×8, first 2 shown]
	v_mad_u32_u24 v20, v55, s18, 0
	v_lshlrev_b32_sdwa v21, v30, v56 dst_sel:DWORD dst_unused:UNUSED_PAD src0_sel:DWORD src1_sel:BYTE_0
	v_add3_u32 v20, v20, v21, v76
	ds_write_b128 v20, v[0:3]
	ds_write_b128 v20, v[16:19] offset:208
	ds_write_b128 v20, v[8:11] offset:416
	;; [unrolled: 1-line block ×4, first 2 shown]
.LBB0_18:
	s_or_b64 exec, exec, s[16:17]
	s_waitcnt lgkmcnt(0)
	s_barrier
	s_and_saveexec_b64 s[4:5], s[0:1]
	s_cbranch_execz .LBB0_20
; %bb.19:
	v_lshlrev_b32_e32 v69, 3, v75
	v_mov_b32_e32 v70, 0
	v_lshlrev_b64 v[0:1], 4, v[69:70]
	v_mov_b32_e32 v2, s9
	v_add_co_u32_e32 v34, vcc, s8, v0
	v_addc_co_u32_e32 v35, vcc, v2, v1, vcc
	global_load_dwordx4 v[0:3], v[34:35], off offset:864
	global_load_dwordx4 v[4:7], v[34:35], off offset:912
	;; [unrolled: 1-line block ×8, first 2 shown]
	ds_read_b128 v[34:37], v29 offset:3120
	ds_read_b128 v[38:41], v29 offset:2080
	;; [unrolled: 1-line block ×8, first 2 shown]
	ds_read_b128 v[66:69], v28
	s_mov_b32 s4, 0x8c811c17
	s_mov_b32 s14, 0xa2cf5039
	;; [unrolled: 1-line block ×16, first 2 shown]
	s_waitcnt vmcnt(7) lgkmcnt(8)
	v_mul_f64 v[28:29], v[2:3], v[36:37]
	s_waitcnt vmcnt(6) lgkmcnt(6)
	v_mul_f64 v[75:76], v[6:7], v[44:45]
	s_waitcnt vmcnt(5)
	v_mul_f64 v[77:78], v[10:11], v[40:41]
	s_waitcnt vmcnt(4) lgkmcnt(5)
	v_mul_f64 v[79:80], v[14:15], v[48:49]
	s_waitcnt vmcnt(3) lgkmcnt(4)
	;; [unrolled: 2-line block ×3, first 2 shown]
	v_mul_f64 v[83:84], v[22:23], v[56:57]
	v_mul_f64 v[18:19], v[50:51], v[18:19]
	;; [unrolled: 1-line block ×5, first 2 shown]
	s_waitcnt vmcnt(1) lgkmcnt(1)
	v_mul_f64 v[85:86], v[26:27], v[64:65]
	s_waitcnt vmcnt(0)
	v_mul_f64 v[87:88], v[32:33], v[60:61]
	v_mul_f64 v[2:3], v[34:35], v[2:3]
	;; [unrolled: 1-line block ×5, first 2 shown]
	v_fma_f64 v[28:29], v[0:1], v[34:35], v[28:29]
	v_fma_f64 v[34:35], v[4:5], v[42:43], v[75:76]
	;; [unrolled: 1-line block ×6, first 2 shown]
	v_fma_f64 v[16:17], v[16:17], v[52:53], -v[18:19]
	v_fma_f64 v[18:19], v[20:21], v[56:57], -v[22:23]
	;; [unrolled: 1-line block ×8, first 2 shown]
	v_add_f64 v[14:15], v[38:39], -v[42:43]
	v_add_f64 v[20:21], v[46:47], -v[50:51]
	v_add_f64 v[38:39], v[38:39], v[42:43]
	v_add_f64 v[26:27], v[8:9], v[10:11]
	v_add_f64 v[8:9], v[8:9], -v[10:11]
	v_add_f64 v[10:11], v[16:17], -v[18:19]
	v_fma_f64 v[54:55], v[24:25], v[62:63], v[85:86]
	v_fma_f64 v[58:59], v[30:31], v[58:59], v[87:88]
	v_add_f64 v[12:13], v[28:29], -v[34:35]
	v_add_f64 v[24:25], v[16:17], v[18:19]
	v_add_f64 v[30:31], v[0:1], v[2:3]
	;; [unrolled: 1-line block ×3, first 2 shown]
	v_add_f64 v[36:37], v[0:1], -v[2:3]
	v_add_f64 v[0:1], v[4:5], -v[6:7]
	v_add_f64 v[40:41], v[46:47], v[50:51]
	v_add_f64 v[28:29], v[28:29], v[34:35]
	v_mul_f64 v[4:5], v[20:21], s[4:5]
	s_waitcnt lgkmcnt(0)
	v_fma_f64 v[6:7], v[26:27], s[14:15], v[68:69]
	v_mul_f64 v[34:35], v[10:11], s[4:5]
	v_fma_f64 v[42:43], v[38:39], s[14:15], v[66:67]
	v_add_f64 v[2:3], v[54:55], v[58:59]
	v_add_f64 v[22:23], v[54:55], -v[58:59]
	v_add_f64 v[44:45], v[26:27], v[32:33]
	v_mul_f64 v[60:61], v[20:21], s[6:7]
	v_fma_f64 v[4:5], v[14:15], s[6:7], -v[4:5]
	v_fma_f64 v[6:7], v[24:25], s[12:13], v[6:7]
	v_fma_f64 v[34:35], v[8:9], s[6:7], -v[34:35]
	v_fma_f64 v[42:43], v[40:41], s[12:13], v[42:43]
	v_add_f64 v[48:49], v[38:39], v[2:3]
	v_mul_f64 v[64:65], v[10:11], s[6:7]
	v_fma_f64 v[62:63], v[24:25], s[14:15], v[68:69]
	v_fma_f64 v[75:76], v[40:41], s[14:15], v[66:67]
	;; [unrolled: 1-line block ×3, first 2 shown]
	v_fma_f64 v[6:7], v[30:31], -0.5, v[6:7]
	v_fma_f64 v[34:35], v[36:37], s[0:1], v[34:35]
	v_fma_f64 v[42:43], v[28:29], -0.5, v[42:43]
	s_mov_b32 s7, 0x3fe491b7
	v_add_f64 v[58:59], v[28:29], v[66:67]
	v_fma_f64 v[77:78], v[32:33], s[14:15], v[68:69]
	v_add_f64 v[81:82], v[30:31], v[44:45]
	v_add_f64 v[83:84], v[28:29], v[48:49]
	;; [unrolled: 1-line block ×3, first 2 shown]
	v_mul_f64 v[85:86], v[22:23], s[6:7]
	v_add_f64 v[52:53], v[20:21], v[22:23]
	v_add_f64 v[56:57], v[10:11], v[0:1]
	v_fma_f64 v[79:80], v[2:3], s[14:15], v[66:67]
	v_fma_f64 v[60:61], v[22:23], s[4:5], v[60:61]
	;; [unrolled: 1-line block ×3, first 2 shown]
	v_mul_f64 v[87:88], v[0:1], s[6:7]
	v_fma_f64 v[4:5], v[22:23], s[8:9], v[4:5]
	v_fma_f64 v[6:7], v[32:33], s[10:11], v[6:7]
	;; [unrolled: 1-line block ×4, first 2 shown]
	v_add_f64 v[54:55], v[30:31], v[68:69]
	v_add_f64 v[44:45], v[24:25], v[44:45]
	v_fma_f64 v[62:63], v[32:33], s[12:13], v[62:63]
	v_fma_f64 v[75:76], v[2:3], s[12:13], v[75:76]
	;; [unrolled: 1-line block ×3, first 2 shown]
	v_add_f64 v[16:17], v[16:17], v[81:82]
	v_fma_f64 v[42:43], v[48:49], -0.5, v[58:59]
	v_fma_f64 v[48:49], v[14:15], s[4:5], v[85:86]
	v_fma_f64 v[79:80], v[38:39], s[12:13], v[79:80]
	v_add_f64 v[2:3], v[4:5], v[6:7]
	v_add_f64 v[0:1], v[0:1], -v[22:23]
	v_fma_f64 v[58:59], v[8:9], s[4:5], v[87:88]
	v_add_f64 v[32:33], v[46:47], v[83:84]
	v_fma_f64 v[34:35], v[44:45], -0.5, v[54:55]
	v_fma_f64 v[44:45], v[12:13], s[16:17], v[60:61]
	v_fma_f64 v[46:47], v[30:31], -0.5, v[62:63]
	v_fma_f64 v[54:55], v[36:37], s[16:17], v[64:65]
	v_fma_f64 v[60:61], v[28:29], -0.5, v[75:76]
	v_add_f64 v[62:63], v[18:19], v[16:17]
	v_fma_f64 v[12:13], v[12:13], s[0:1], v[48:49]
	v_fma_f64 v[16:17], v[30:31], -0.5, v[77:78]
	v_fma_f64 v[6:7], v[4:5], -2.0, v[2:3]
	v_fma_f64 v[4:5], v[22:23], 2.0, v[0:1]
	v_fma_f64 v[18:19], v[36:37], s[0:1], v[58:59]
	v_fma_f64 v[22:23], v[28:29], -0.5, v[79:80]
	v_add_f64 v[52:53], v[52:53], -v[14:15]
	v_add_f64 v[56:57], v[56:57], -v[8:9]
	v_fma_f64 v[28:29], v[14:15], s[8:9], v[44:45]
	v_fma_f64 v[14:15], v[26:27], s[10:11], v[46:47]
	;; [unrolled: 1-line block ×8, first 2 shown]
	v_add_f64 v[32:33], v[50:51], v[32:33]
	v_mul_f64 v[24:25], v[52:53], s[0:1]
	v_fma_f64 v[10:11], v[52:53], s[0:1], v[34:35]
	v_mul_f64 v[30:31], v[56:57], s[0:1]
	v_fma_f64 v[8:9], v[56:57], s[16:17], v[42:43]
	v_add_f64 v[14:15], v[28:29], v[14:15]
	v_add_f64 v[12:13], v[26:27], -v[36:37]
	v_add_f64 v[18:19], v[38:39], v[16:17]
	v_add_f64 v[16:17], v[20:21], -v[44:45]
	v_add_f64 v[22:23], v[68:69], v[62:63]
	v_add_f64 v[20:21], v[66:67], v[32:33]
	v_fma_f64 v[26:27], v[24:25], -2.0, v[10:11]
	v_fma_f64 v[24:25], v[30:31], 2.0, v[8:9]
	v_fma_f64 v[30:31], v[28:29], -2.0, v[14:15]
	v_fma_f64 v[28:29], v[36:37], 2.0, v[12:13]
	v_lshlrev_b64 v[36:37], 4, v[72:73]
	v_fma_f64 v[34:35], v[38:39], -2.0, v[18:19]
	v_mov_b32_e32 v75, v70
	v_mov_b32_e32 v38, s3
	v_add_co_u32_e32 v39, vcc, s2, v36
	v_fma_f64 v[32:33], v[44:45], 2.0, v[16:17]
	v_addc_co_u32_e32 v38, vcc, v38, v37, vcc
	v_lshlrev_b64 v[36:37], 4, v[74:75]
	s_movk_i32 s0, 0x1000
	v_add_co_u32_e32 v36, vcc, v39, v36
	v_addc_co_u32_e32 v37, vcc, v38, v37, vcc
	global_store_dwordx4 v[36:37], v[20:23], off
	global_store_dwordx4 v[36:37], v[16:19], off offset:1040
	global_store_dwordx4 v[36:37], v[12:15], off offset:2080
	;; [unrolled: 1-line block ×3, first 2 shown]
	s_nop 0
	v_add_co_u32_e32 v8, vcc, s0, v36
	v_addc_co_u32_e32 v9, vcc, 0, v37, vcc
	global_store_dwordx4 v[8:9], v[0:3], off offset:64
	global_store_dwordx4 v[8:9], v[4:7], off offset:1104
	;; [unrolled: 1-line block ×4, first 2 shown]
	v_add_co_u32_e32 v0, vcc, 0x2000, v36
	v_addc_co_u32_e32 v1, vcc, 0, v37, vcc
	global_store_dwordx4 v[0:1], v[32:35], off offset:128
.LBB0_20:
	s_endpgm
	.section	.rodata,"a",@progbits
	.p2align	6, 0x0
	.amdhsa_kernel fft_rtc_back_len585_factors_13_5_9_wgs_195_tpt_65_dp_ip_CI_unitstride_sbrr_dirReg
		.amdhsa_group_segment_fixed_size 0
		.amdhsa_private_segment_fixed_size 0
		.amdhsa_kernarg_size 88
		.amdhsa_user_sgpr_count 6
		.amdhsa_user_sgpr_private_segment_buffer 1
		.amdhsa_user_sgpr_dispatch_ptr 0
		.amdhsa_user_sgpr_queue_ptr 0
		.amdhsa_user_sgpr_kernarg_segment_ptr 1
		.amdhsa_user_sgpr_dispatch_id 0
		.amdhsa_user_sgpr_flat_scratch_init 0
		.amdhsa_user_sgpr_private_segment_size 0
		.amdhsa_uses_dynamic_stack 0
		.amdhsa_system_sgpr_private_segment_wavefront_offset 0
		.amdhsa_system_sgpr_workgroup_id_x 1
		.amdhsa_system_sgpr_workgroup_id_y 0
		.amdhsa_system_sgpr_workgroup_id_z 0
		.amdhsa_system_sgpr_workgroup_info 0
		.amdhsa_system_vgpr_workitem_id 0
		.amdhsa_next_free_vgpr 178
		.amdhsa_next_free_sgpr 46
		.amdhsa_reserve_vcc 1
		.amdhsa_reserve_flat_scratch 0
		.amdhsa_float_round_mode_32 0
		.amdhsa_float_round_mode_16_64 0
		.amdhsa_float_denorm_mode_32 3
		.amdhsa_float_denorm_mode_16_64 3
		.amdhsa_dx10_clamp 1
		.amdhsa_ieee_mode 1
		.amdhsa_fp16_overflow 0
		.amdhsa_exception_fp_ieee_invalid_op 0
		.amdhsa_exception_fp_denorm_src 0
		.amdhsa_exception_fp_ieee_div_zero 0
		.amdhsa_exception_fp_ieee_overflow 0
		.amdhsa_exception_fp_ieee_underflow 0
		.amdhsa_exception_fp_ieee_inexact 0
		.amdhsa_exception_int_div_zero 0
	.end_amdhsa_kernel
	.text
.Lfunc_end0:
	.size	fft_rtc_back_len585_factors_13_5_9_wgs_195_tpt_65_dp_ip_CI_unitstride_sbrr_dirReg, .Lfunc_end0-fft_rtc_back_len585_factors_13_5_9_wgs_195_tpt_65_dp_ip_CI_unitstride_sbrr_dirReg
                                        ; -- End function
	.section	.AMDGPU.csdata,"",@progbits
; Kernel info:
; codeLenInByte = 8356
; NumSgprs: 50
; NumVgprs: 178
; ScratchSize: 0
; MemoryBound: 1
; FloatMode: 240
; IeeeMode: 1
; LDSByteSize: 0 bytes/workgroup (compile time only)
; SGPRBlocks: 6
; VGPRBlocks: 44
; NumSGPRsForWavesPerEU: 50
; NumVGPRsForWavesPerEU: 178
; Occupancy: 1
; WaveLimiterHint : 1
; COMPUTE_PGM_RSRC2:SCRATCH_EN: 0
; COMPUTE_PGM_RSRC2:USER_SGPR: 6
; COMPUTE_PGM_RSRC2:TRAP_HANDLER: 0
; COMPUTE_PGM_RSRC2:TGID_X_EN: 1
; COMPUTE_PGM_RSRC2:TGID_Y_EN: 0
; COMPUTE_PGM_RSRC2:TGID_Z_EN: 0
; COMPUTE_PGM_RSRC2:TIDIG_COMP_CNT: 0
	.type	__hip_cuid_5dc0d9a97a2d0e70,@object ; @__hip_cuid_5dc0d9a97a2d0e70
	.section	.bss,"aw",@nobits
	.globl	__hip_cuid_5dc0d9a97a2d0e70
__hip_cuid_5dc0d9a97a2d0e70:
	.byte	0                               ; 0x0
	.size	__hip_cuid_5dc0d9a97a2d0e70, 1

	.ident	"AMD clang version 19.0.0git (https://github.com/RadeonOpenCompute/llvm-project roc-6.4.0 25133 c7fe45cf4b819c5991fe208aaa96edf142730f1d)"
	.section	".note.GNU-stack","",@progbits
	.addrsig
	.addrsig_sym __hip_cuid_5dc0d9a97a2d0e70
	.amdgpu_metadata
---
amdhsa.kernels:
  - .args:
      - .actual_access:  read_only
        .address_space:  global
        .offset:         0
        .size:           8
        .value_kind:     global_buffer
      - .offset:         8
        .size:           8
        .value_kind:     by_value
      - .actual_access:  read_only
        .address_space:  global
        .offset:         16
        .size:           8
        .value_kind:     global_buffer
      - .actual_access:  read_only
        .address_space:  global
        .offset:         24
        .size:           8
        .value_kind:     global_buffer
      - .offset:         32
        .size:           8
        .value_kind:     by_value
      - .actual_access:  read_only
        .address_space:  global
        .offset:         40
        .size:           8
        .value_kind:     global_buffer
      - .actual_access:  read_only
        .address_space:  global
        .offset:         48
        .size:           8
        .value_kind:     global_buffer
      - .offset:         56
        .size:           4
        .value_kind:     by_value
      - .actual_access:  read_only
        .address_space:  global
        .offset:         64
        .size:           8
        .value_kind:     global_buffer
      - .actual_access:  read_only
        .address_space:  global
        .offset:         72
        .size:           8
        .value_kind:     global_buffer
      - .address_space:  global
        .offset:         80
        .size:           8
        .value_kind:     global_buffer
    .group_segment_fixed_size: 0
    .kernarg_segment_align: 8
    .kernarg_segment_size: 88
    .language:       OpenCL C
    .language_version:
      - 2
      - 0
    .max_flat_workgroup_size: 195
    .name:           fft_rtc_back_len585_factors_13_5_9_wgs_195_tpt_65_dp_ip_CI_unitstride_sbrr_dirReg
    .private_segment_fixed_size: 0
    .sgpr_count:     50
    .sgpr_spill_count: 0
    .symbol:         fft_rtc_back_len585_factors_13_5_9_wgs_195_tpt_65_dp_ip_CI_unitstride_sbrr_dirReg.kd
    .uniform_work_group_size: 1
    .uses_dynamic_stack: false
    .vgpr_count:     178
    .vgpr_spill_count: 0
    .wavefront_size: 64
amdhsa.target:   amdgcn-amd-amdhsa--gfx906
amdhsa.version:
  - 1
  - 2
...

	.end_amdgpu_metadata
